;; amdgpu-corpus repo=ROCm/rocFFT kind=compiled arch=gfx1030 opt=O3
	.text
	.amdgcn_target "amdgcn-amd-amdhsa--gfx1030"
	.amdhsa_code_object_version 6
	.protected	fft_rtc_back_len390_factors_13_3_10_wgs_117_tpt_39_dp_ip_CI_unitstride_sbrr_C2R_dirReg ; -- Begin function fft_rtc_back_len390_factors_13_3_10_wgs_117_tpt_39_dp_ip_CI_unitstride_sbrr_C2R_dirReg
	.globl	fft_rtc_back_len390_factors_13_3_10_wgs_117_tpt_39_dp_ip_CI_unitstride_sbrr_C2R_dirReg
	.p2align	8
	.type	fft_rtc_back_len390_factors_13_3_10_wgs_117_tpt_39_dp_ip_CI_unitstride_sbrr_C2R_dirReg,@function
fft_rtc_back_len390_factors_13_3_10_wgs_117_tpt_39_dp_ip_CI_unitstride_sbrr_C2R_dirReg: ; @fft_rtc_back_len390_factors_13_3_10_wgs_117_tpt_39_dp_ip_CI_unitstride_sbrr_C2R_dirReg
; %bb.0:
	s_load_dwordx4 s[8:11], s[4:5], 0x0
	v_mul_u32_u24_e32 v1, 0x691, v0
	s_clause 0x1
	s_load_dwordx2 s[2:3], s[4:5], 0x50
	s_load_dwordx2 s[12:13], s[4:5], 0x18
	v_mov_b32_e32 v5, 0
	v_mov_b32_e32 v3, 0
	;; [unrolled: 1-line block ×3, first 2 shown]
	v_lshrrev_b32_e32 v1, 16, v1
	v_mad_u64_u32 v[1:2], null, s6, 3, v[1:2]
	v_mov_b32_e32 v2, v5
	v_mov_b32_e32 v10, v2
	;; [unrolled: 1-line block ×3, first 2 shown]
	s_waitcnt lgkmcnt(0)
	v_cmp_lt_u64_e64 s0, s[10:11], 2
	s_and_b32 vcc_lo, exec_lo, s0
	s_cbranch_vccnz .LBB0_8
; %bb.1:
	s_load_dwordx2 s[0:1], s[4:5], 0x10
	v_mov_b32_e32 v3, 0
	v_mov_b32_e32 v8, v2
	s_add_u32 s6, s12, 8
	v_mov_b32_e32 v4, 0
	v_mov_b32_e32 v7, v1
	s_addc_u32 s7, s13, 0
	s_mov_b64 s[16:17], 1
	s_waitcnt lgkmcnt(0)
	s_add_u32 s14, s0, 8
	s_addc_u32 s15, s1, 0
.LBB0_2:                                ; =>This Inner Loop Header: Depth=1
	s_load_dwordx2 s[18:19], s[14:15], 0x0
                                        ; implicit-def: $vgpr9_vgpr10
	s_mov_b32 s0, exec_lo
	s_waitcnt lgkmcnt(0)
	v_or_b32_e32 v6, s19, v8
	v_cmpx_ne_u64_e32 0, v[5:6]
	s_xor_b32 s1, exec_lo, s0
	s_cbranch_execz .LBB0_4
; %bb.3:                                ;   in Loop: Header=BB0_2 Depth=1
	v_cvt_f32_u32_e32 v2, s18
	v_cvt_f32_u32_e32 v6, s19
	s_sub_u32 s0, 0, s18
	s_subb_u32 s20, 0, s19
	v_fmac_f32_e32 v2, 0x4f800000, v6
	v_rcp_f32_e32 v2, v2
	v_mul_f32_e32 v2, 0x5f7ffffc, v2
	v_mul_f32_e32 v6, 0x2f800000, v2
	v_trunc_f32_e32 v6, v6
	v_fmac_f32_e32 v2, 0xcf800000, v6
	v_cvt_u32_f32_e32 v6, v6
	v_cvt_u32_f32_e32 v2, v2
	v_mul_lo_u32 v9, s0, v6
	v_mul_hi_u32 v10, s0, v2
	v_mul_lo_u32 v11, s20, v2
	v_add_nc_u32_e32 v9, v10, v9
	v_mul_lo_u32 v10, s0, v2
	v_add_nc_u32_e32 v9, v9, v11
	v_mul_hi_u32 v11, v2, v10
	v_mul_lo_u32 v12, v2, v9
	v_mul_hi_u32 v13, v2, v9
	v_mul_hi_u32 v14, v6, v10
	v_mul_lo_u32 v10, v6, v10
	v_mul_hi_u32 v15, v6, v9
	v_mul_lo_u32 v9, v6, v9
	v_add_co_u32 v11, vcc_lo, v11, v12
	v_add_co_ci_u32_e32 v12, vcc_lo, 0, v13, vcc_lo
	v_add_co_u32 v10, vcc_lo, v11, v10
	v_add_co_ci_u32_e32 v10, vcc_lo, v12, v14, vcc_lo
	v_add_co_ci_u32_e32 v11, vcc_lo, 0, v15, vcc_lo
	v_add_co_u32 v9, vcc_lo, v10, v9
	v_add_co_ci_u32_e32 v10, vcc_lo, 0, v11, vcc_lo
	v_add_co_u32 v2, vcc_lo, v2, v9
	v_add_co_ci_u32_e32 v6, vcc_lo, v6, v10, vcc_lo
	v_mul_hi_u32 v9, s0, v2
	v_mul_lo_u32 v11, s20, v2
	v_mul_lo_u32 v10, s0, v6
	v_add_nc_u32_e32 v9, v9, v10
	v_mul_lo_u32 v10, s0, v2
	v_add_nc_u32_e32 v9, v9, v11
	v_mul_hi_u32 v11, v2, v10
	v_mul_lo_u32 v12, v2, v9
	v_mul_hi_u32 v13, v2, v9
	v_mul_hi_u32 v14, v6, v10
	v_mul_lo_u32 v10, v6, v10
	v_mul_hi_u32 v15, v6, v9
	v_mul_lo_u32 v9, v6, v9
	v_add_co_u32 v11, vcc_lo, v11, v12
	v_add_co_ci_u32_e32 v12, vcc_lo, 0, v13, vcc_lo
	v_add_co_u32 v10, vcc_lo, v11, v10
	v_add_co_ci_u32_e32 v10, vcc_lo, v12, v14, vcc_lo
	v_add_co_ci_u32_e32 v11, vcc_lo, 0, v15, vcc_lo
	v_add_co_u32 v9, vcc_lo, v10, v9
	v_add_co_ci_u32_e32 v10, vcc_lo, 0, v11, vcc_lo
	v_add_co_u32 v2, vcc_lo, v2, v9
	v_add_co_ci_u32_e32 v6, vcc_lo, v6, v10, vcc_lo
	v_mul_hi_u32 v15, v7, v2
	v_mad_u64_u32 v[11:12], null, v8, v2, 0
	v_mad_u64_u32 v[9:10], null, v7, v6, 0
	v_mad_u64_u32 v[13:14], null, v8, v6, 0
	v_add_co_u32 v2, vcc_lo, v15, v9
	v_add_co_ci_u32_e32 v6, vcc_lo, 0, v10, vcc_lo
	v_add_co_u32 v2, vcc_lo, v2, v11
	v_add_co_ci_u32_e32 v2, vcc_lo, v6, v12, vcc_lo
	v_add_co_ci_u32_e32 v6, vcc_lo, 0, v14, vcc_lo
	v_add_co_u32 v2, vcc_lo, v2, v13
	v_add_co_ci_u32_e32 v6, vcc_lo, 0, v6, vcc_lo
	v_mul_lo_u32 v11, s19, v2
	v_mad_u64_u32 v[9:10], null, s18, v2, 0
	v_mul_lo_u32 v12, s18, v6
	v_sub_co_u32 v9, vcc_lo, v7, v9
	v_add3_u32 v10, v10, v12, v11
	v_sub_nc_u32_e32 v11, v8, v10
	v_subrev_co_ci_u32_e64 v11, s0, s19, v11, vcc_lo
	v_add_co_u32 v12, s0, v2, 2
	v_add_co_ci_u32_e64 v13, s0, 0, v6, s0
	v_sub_co_u32 v14, s0, v9, s18
	v_sub_co_ci_u32_e32 v10, vcc_lo, v8, v10, vcc_lo
	v_subrev_co_ci_u32_e64 v11, s0, 0, v11, s0
	v_cmp_le_u32_e32 vcc_lo, s18, v14
	v_cmp_eq_u32_e64 s0, s19, v10
	v_cndmask_b32_e64 v14, 0, -1, vcc_lo
	v_cmp_le_u32_e32 vcc_lo, s19, v11
	v_cndmask_b32_e64 v15, 0, -1, vcc_lo
	v_cmp_le_u32_e32 vcc_lo, s18, v9
	;; [unrolled: 2-line block ×3, first 2 shown]
	v_cndmask_b32_e64 v16, 0, -1, vcc_lo
	v_cmp_eq_u32_e32 vcc_lo, s19, v11
	v_cndmask_b32_e64 v9, v16, v9, s0
	v_cndmask_b32_e32 v11, v15, v14, vcc_lo
	v_add_co_u32 v14, vcc_lo, v2, 1
	v_add_co_ci_u32_e32 v15, vcc_lo, 0, v6, vcc_lo
	v_cmp_ne_u32_e32 vcc_lo, 0, v11
	v_cndmask_b32_e32 v10, v15, v13, vcc_lo
	v_cndmask_b32_e32 v11, v14, v12, vcc_lo
	v_cmp_ne_u32_e32 vcc_lo, 0, v9
	v_cndmask_b32_e32 v10, v6, v10, vcc_lo
	v_cndmask_b32_e32 v9, v2, v11, vcc_lo
.LBB0_4:                                ;   in Loop: Header=BB0_2 Depth=1
	s_andn2_saveexec_b32 s0, s1
	s_cbranch_execz .LBB0_6
; %bb.5:                                ;   in Loop: Header=BB0_2 Depth=1
	v_cvt_f32_u32_e32 v2, s18
	s_sub_i32 s1, 0, s18
	v_rcp_iflag_f32_e32 v2, v2
	v_mul_f32_e32 v2, 0x4f7ffffe, v2
	v_cvt_u32_f32_e32 v2, v2
	v_mul_lo_u32 v6, s1, v2
	v_mul_hi_u32 v6, v2, v6
	v_add_nc_u32_e32 v2, v2, v6
	v_mul_hi_u32 v2, v7, v2
	v_mul_lo_u32 v6, v2, s18
	v_add_nc_u32_e32 v9, 1, v2
	v_sub_nc_u32_e32 v6, v7, v6
	v_subrev_nc_u32_e32 v10, s18, v6
	v_cmp_le_u32_e32 vcc_lo, s18, v6
	v_cndmask_b32_e32 v6, v6, v10, vcc_lo
	v_cndmask_b32_e32 v2, v2, v9, vcc_lo
	v_mov_b32_e32 v10, v5
	v_cmp_le_u32_e32 vcc_lo, s18, v6
	v_add_nc_u32_e32 v9, 1, v2
	v_cndmask_b32_e32 v9, v2, v9, vcc_lo
.LBB0_6:                                ;   in Loop: Header=BB0_2 Depth=1
	s_or_b32 exec_lo, exec_lo, s0
	s_load_dwordx2 s[0:1], s[6:7], 0x0
	v_mul_lo_u32 v2, v10, s18
	v_mul_lo_u32 v6, v9, s19
	v_mad_u64_u32 v[11:12], null, v9, s18, 0
	s_add_u32 s16, s16, 1
	s_addc_u32 s17, s17, 0
	s_add_u32 s6, s6, 8
	s_addc_u32 s7, s7, 0
	;; [unrolled: 2-line block ×3, first 2 shown]
	v_add3_u32 v2, v12, v6, v2
	v_sub_co_u32 v6, vcc_lo, v7, v11
	v_sub_co_ci_u32_e32 v2, vcc_lo, v8, v2, vcc_lo
	s_waitcnt lgkmcnt(0)
	v_mul_lo_u32 v7, s1, v6
	v_mul_lo_u32 v2, s0, v2
	v_mad_u64_u32 v[3:4], null, s0, v6, v[3:4]
	v_cmp_ge_u64_e64 s0, s[16:17], s[10:11]
	s_and_b32 vcc_lo, exec_lo, s0
	v_add3_u32 v4, v7, v4, v2
	s_cbranch_vccnz .LBB0_8
; %bb.7:                                ;   in Loop: Header=BB0_2 Depth=1
	v_mov_b32_e32 v7, v9
	v_mov_b32_e32 v8, v10
	s_branch .LBB0_2
.LBB0_8:
	s_lshl_b64 s[0:1], s[10:11], 3
	v_mul_hi_u32 v2, 0xaaaaaaab, v1
	s_add_u32 s0, s12, s0
	s_addc_u32 s1, s13, s1
	s_load_dwordx2 s[4:5], s[4:5], 0x20
	s_load_dwordx2 s[0:1], s[0:1], 0x0
	v_mul_hi_u32 v5, 0x6906907, v0
	v_lshrrev_b32_e32 v2, 1, v2
	v_lshl_add_u32 v6, v2, 1, v2
	v_sub_nc_u32_e32 v1, v1, v6
	s_waitcnt lgkmcnt(0)
	v_cmp_gt_u64_e32 vcc_lo, s[4:5], v[9:10]
	v_mul_lo_u32 v7, s0, v10
	v_mul_lo_u32 v8, s1, v9
	v_mad_u64_u32 v[2:3], null, s0, v9, v[3:4]
	v_mul_u32_u24_e32 v4, 39, v5
	v_mul_u32_u24_e32 v1, 0x187, v1
	v_sub_nc_u32_e32 v64, v0, v4
	v_add3_u32 v3, v8, v3, v7
	v_lshlrev_b32_e32 v190, 4, v1
	v_lshlrev_b64 v[66:67], 4, v[2:3]
	s_and_saveexec_b32 s1, vcc_lo
	s_cbranch_execz .LBB0_12
; %bb.9:
	v_mov_b32_e32 v65, 0
	v_add_co_u32 v0, s0, s2, v66
	v_add_co_ci_u32_e64 v2, s0, s3, v67, s0
	v_lshlrev_b64 v[3:4], 4, v[64:65]
	s_mov_b32 s4, exec_lo
	v_add_co_u32 v16, s0, v0, v3
	v_add_co_ci_u32_e64 v17, s0, v2, v4, s0
	v_lshlrev_b32_e32 v3, 4, v64
	v_add_co_u32 v28, s0, 0x800, v16
	v_add_co_ci_u32_e64 v29, s0, 0, v17, s0
	v_add_co_u32 v40, s0, 0x1000, v16
	v_add_co_ci_u32_e64 v41, s0, 0, v17, s0
	s_clause 0x9
	global_load_dwordx4 v[4:7], v[16:17], off
	global_load_dwordx4 v[8:11], v[16:17], off offset:624
	global_load_dwordx4 v[12:15], v[16:17], off offset:1248
	;; [unrolled: 1-line block ×9, first 2 shown]
	v_add3_u32 v3, 0, v190, v3
	s_waitcnt vmcnt(9)
	ds_write_b128 v3, v[4:7]
	s_waitcnt vmcnt(8)
	ds_write_b128 v3, v[8:11] offset:624
	s_waitcnt vmcnt(7)
	ds_write_b128 v3, v[12:15] offset:1248
	;; [unrolled: 2-line block ×9, first 2 shown]
	v_cmpx_eq_u32_e32 38, v64
	s_cbranch_execz .LBB0_11
; %bb.10:
	v_add_co_u32 v4, s0, 0x1800, v0
	v_add_co_ci_u32_e64 v5, s0, 0, v2, s0
	v_mov_b32_e32 v64, 38
	global_load_dwordx4 v[4:7], v[4:5], off offset:96
	s_waitcnt vmcnt(0)
	ds_write_b128 v3, v[4:7] offset:5632
.LBB0_11:
	s_or_b32 exec_lo, exec_lo, s4
.LBB0_12:
	s_or_b32 exec_lo, exec_lo, s1
	v_lshl_add_u32 v188, v1, 4, 0
	v_lshlrev_b32_e32 v11, 4, v64
	s_waitcnt lgkmcnt(0)
	s_barrier
	buffer_gl0_inv
	s_add_u32 s1, s8, 0x1790
	v_add_nc_u32_e32 v189, v188, v11
	v_sub_nc_u32_e32 v10, v188, v11
	s_addc_u32 s4, s9, 0
	s_mov_b32 s5, exec_lo
	ds_read_b64 v[6:7], v189
	ds_read_b64 v[8:9], v10 offset:6240
                                        ; implicit-def: $vgpr4_vgpr5
	s_waitcnt lgkmcnt(0)
	v_add_f64 v[0:1], v[6:7], v[8:9]
	v_add_f64 v[2:3], v[6:7], -v[8:9]
	v_cmpx_ne_u32_e32 0, v64
	s_xor_b32 s5, exec_lo, s5
	s_cbranch_execz .LBB0_14
; %bb.13:
	v_mov_b32_e32 v65, 0
	v_add_f64 v[14:15], v[6:7], v[8:9]
	v_add_f64 v[16:17], v[6:7], -v[8:9]
	v_lshlrev_b64 v[0:1], 4, v[64:65]
	v_add_co_u32 v0, s0, s1, v0
	v_add_co_ci_u32_e64 v1, s0, s4, v1, s0
	global_load_dwordx4 v[2:5], v[0:1], off
	ds_read_b64 v[0:1], v10 offset:6248
	ds_read_b64 v[12:13], v189 offset:8
	s_waitcnt lgkmcnt(0)
	v_add_f64 v[6:7], v[0:1], v[12:13]
	v_add_f64 v[0:1], v[12:13], -v[0:1]
	s_waitcnt vmcnt(0)
	v_fma_f64 v[8:9], v[16:17], v[4:5], v[14:15]
	v_fma_f64 v[12:13], -v[16:17], v[4:5], v[14:15]
	v_fma_f64 v[14:15], v[6:7], v[4:5], -v[0:1]
	v_fma_f64 v[4:5], v[6:7], v[4:5], v[0:1]
	v_fma_f64 v[0:1], -v[6:7], v[2:3], v[8:9]
	v_fma_f64 v[6:7], v[6:7], v[2:3], v[12:13]
	v_fma_f64 v[8:9], v[16:17], v[2:3], v[14:15]
	;; [unrolled: 1-line block ×3, first 2 shown]
	v_mov_b32_e32 v4, v64
	v_mov_b32_e32 v5, v65
	ds_write_b128 v10, v[6:9] offset:6240
.LBB0_14:
	s_andn2_saveexec_b32 s0, s5
	s_cbranch_execz .LBB0_16
; %bb.15:
	ds_read_b128 v[4:7], v188 offset:3120
	s_waitcnt lgkmcnt(0)
	v_add_f64 v[12:13], v[4:5], v[4:5]
	v_mul_f64 v[14:15], v[6:7], -2.0
	v_mov_b32_e32 v4, 0
	v_mov_b32_e32 v5, 0
	ds_write_b128 v188, v[12:15] offset:3120
.LBB0_16:
	s_or_b32 exec_lo, exec_lo, s0
	v_lshlrev_b64 v[4:5], 4, v[4:5]
	v_add3_u32 v65, 0, v11, v190
	s_mov_b32 s6, 0x1ea71119
	s_mov_b32 s14, 0x2ef20147
	;; [unrolled: 1-line block ×4, first 2 shown]
	v_add_co_u32 v8, s0, s1, v4
	v_add_co_ci_u32_e64 v9, s0, s4, v5, s0
	s_mov_b32 s4, 0x42a4c3d2
	s_mov_b32 s28, 0x66966769
	;; [unrolled: 1-line block ×3, first 2 shown]
	s_clause 0x2
	global_load_dwordx4 v[4:7], v[8:9], off offset:624
	global_load_dwordx4 v[12:15], v[8:9], off offset:1248
	;; [unrolled: 1-line block ×3, first 2 shown]
	v_add_co_u32 v8, s0, 0x800, v8
	v_add_co_ci_u32_e64 v9, s0, 0, v9, s0
	ds_write_b128 v189, v[0:3]
	ds_read_b128 v[0:3], v189 offset:624
	ds_read_b128 v[20:23], v10 offset:5616
	s_mov_b32 s7, 0x3fe22d96
	global_load_dwordx4 v[24:27], v[8:9], off offset:448
	s_mov_b32 s15, 0xbfedeba7
	s_mov_b32 s11, 0xbfd6b1d8
	;; [unrolled: 1-line block ×17, first 2 shown]
	s_waitcnt lgkmcnt(0)
	v_add_f64 v[8:9], v[0:1], v[20:21]
	v_add_f64 v[28:29], v[22:23], v[2:3]
	v_add_f64 v[20:21], v[0:1], -v[20:21]
	v_add_f64 v[0:1], v[2:3], -v[22:23]
	s_mov_b32 s36, s14
	s_mov_b32 s27, 0x3fefc445
	s_mov_b32 s35, 0x3fcea1e5
	s_mov_b32 s26, s28
	s_mov_b32 s34, s18
	s_mov_b32 s31, 0xbfe5384d
	s_mov_b32 s39, 0x3fea55e2
	s_mov_b32 s30, s24
	s_mov_b32 s38, s4
	s_mov_b32 s1, exec_lo
	s_waitcnt vmcnt(3)
	v_fma_f64 v[2:3], v[20:21], v[6:7], v[8:9]
	v_fma_f64 v[22:23], v[28:29], v[6:7], v[0:1]
	v_fma_f64 v[8:9], -v[20:21], v[6:7], v[8:9]
	v_fma_f64 v[30:31], v[28:29], v[6:7], -v[0:1]
	v_fma_f64 v[0:1], -v[28:29], v[4:5], v[2:3]
	v_fma_f64 v[2:3], v[20:21], v[4:5], v[22:23]
	v_fma_f64 v[6:7], v[28:29], v[4:5], v[8:9]
	v_fma_f64 v[8:9], v[20:21], v[4:5], v[30:31]
	ds_write_b128 v189, v[0:3] offset:624
	ds_write_b128 v10, v[6:9] offset:5616
	ds_read_b128 v[0:3], v189 offset:1248
	ds_read_b128 v[4:7], v10 offset:4992
	s_waitcnt lgkmcnt(0)
	v_add_f64 v[8:9], v[0:1], v[4:5]
	v_add_f64 v[20:21], v[6:7], v[2:3]
	v_add_f64 v[22:23], v[0:1], -v[4:5]
	v_add_f64 v[0:1], v[2:3], -v[6:7]
	s_waitcnt vmcnt(2)
	v_fma_f64 v[2:3], v[22:23], v[14:15], v[8:9]
	v_fma_f64 v[4:5], v[20:21], v[14:15], v[0:1]
	v_fma_f64 v[6:7], -v[22:23], v[14:15], v[8:9]
	v_fma_f64 v[8:9], v[20:21], v[14:15], -v[0:1]
	v_fma_f64 v[0:1], -v[20:21], v[12:13], v[2:3]
	v_fma_f64 v[2:3], v[22:23], v[12:13], v[4:5]
	v_fma_f64 v[4:5], v[20:21], v[12:13], v[6:7]
	v_fma_f64 v[6:7], v[22:23], v[12:13], v[8:9]
	ds_write_b128 v189, v[0:3] offset:1248
	ds_write_b128 v10, v[4:7] offset:4992
	ds_read_b128 v[0:3], v189 offset:1872
	ds_read_b128 v[4:7], v10 offset:4368
	s_waitcnt lgkmcnt(0)
	v_add_f64 v[8:9], v[0:1], v[4:5]
	v_add_f64 v[12:13], v[6:7], v[2:3]
	v_add_f64 v[14:15], v[0:1], -v[4:5]
	v_add_f64 v[0:1], v[2:3], -v[6:7]
	;; [unrolled: 18-line block ×3, first 2 shown]
	s_waitcnt vmcnt(0)
	v_fma_f64 v[2:3], v[14:15], v[26:27], v[8:9]
	v_fma_f64 v[4:5], v[12:13], v[26:27], v[0:1]
	v_fma_f64 v[6:7], -v[14:15], v[26:27], v[8:9]
	v_fma_f64 v[8:9], v[12:13], v[26:27], -v[0:1]
	v_fma_f64 v[0:1], -v[12:13], v[24:25], v[2:3]
	v_fma_f64 v[2:3], v[14:15], v[24:25], v[4:5]
	v_fma_f64 v[4:5], v[12:13], v[24:25], v[6:7]
	v_fma_f64 v[6:7], v[14:15], v[24:25], v[8:9]
	ds_write_b128 v189, v[0:3] offset:2496
	ds_write_b128 v10, v[4:7] offset:3744
	s_waitcnt lgkmcnt(0)
	s_barrier
	buffer_gl0_inv
	s_barrier
	buffer_gl0_inv
	ds_read_b128 v[12:15], v65 offset:5760
	ds_read_b128 v[24:27], v65 offset:480
	;; [unrolled: 1-line block ×4, first 2 shown]
	ds_read_b128 v[16:19], v189
	ds_read_b128 v[52:55], v65 offset:1440
	ds_read_b128 v[28:31], v65 offset:4800
	;; [unrolled: 1-line block ×8, first 2 shown]
	s_waitcnt lgkmcnt(0)
	s_barrier
	buffer_gl0_inv
	v_add_f64 v[96:97], v[26:27], -v[14:15]
	v_add_f64 v[98:99], v[26:27], v[14:15]
	v_add_f64 v[82:83], v[38:39], -v[22:23]
	v_add_f64 v[68:69], v[38:39], v[22:23]
	v_add_f64 v[158:159], v[24:25], v[12:13]
	v_add_f64 v[168:169], v[24:25], -v[12:13]
	v_add_f64 v[88:89], v[54:55], -v[30:31]
	v_add_f64 v[70:71], v[54:55], v[30:31]
	v_add_f64 v[72:73], v[36:37], v[20:21]
	v_add_f64 v[94:95], v[36:37], -v[20:21]
	v_add_f64 v[74:75], v[52:53], v[28:29]
	v_add_f64 v[100:101], v[52:53], -v[28:29]
	v_add_f64 v[92:93], v[62:63], -v[34:35]
	v_add_f64 v[76:77], v[62:63], v[34:35]
	v_add_f64 v[78:79], v[60:61], v[32:33]
	v_add_f64 v[102:103], v[60:61], -v[32:33]
	v_add_f64 v[106:107], v[58:59], -v[42:43]
	v_add_f64 v[80:81], v[58:59], v[42:43]
	v_mul_f64 v[172:173], v[96:97], s[4:5]
	v_mul_f64 v[178:179], v[98:99], s[6:7]
	;; [unrolled: 1-line block ×22, first 2 shown]
	v_fma_f64 v[0:1], v[158:159], s[6:7], -v[172:173]
	v_fma_f64 v[2:3], v[168:169], s[4:5], v[178:179]
	v_fma_f64 v[4:5], v[158:159], s[20:21], -v[176:177]
	v_fma_f64 v[6:7], v[168:169], s[28:29], v[184:185]
	;; [unrolled: 2-line block ×6, first 2 shown]
	v_mul_f64 v[122:123], v[92:93], s[28:29]
	v_mul_f64 v[126:127], v[76:77], s[20:21]
	v_fma_f64 v[144:145], v[74:75], s[12:13], -v[146:147]
	v_fma_f64 v[150:151], v[100:101], s[18:19], v[148:149]
	v_fma_f64 v[162:163], v[74:75], s[10:11], -v[128:129]
	v_fma_f64 v[164:165], v[100:101], s[36:37], v[130:131]
	;; [unrolled: 2-line block ×3, first 2 shown]
	v_mul_f64 v[166:167], v[106:107], s[26:27]
	v_mul_f64 v[170:171], v[80:81], s[20:21]
	v_add_f64 v[0:1], v[16:17], v[0:1]
	v_add_f64 v[2:3], v[18:19], v[2:3]
	;; [unrolled: 1-line block ×6, first 2 shown]
	v_mul_f64 v[152:153], v[106:107], s[4:5]
	v_mul_f64 v[154:155], v[80:81], s[6:7]
	;; [unrolled: 1-line block ×4, first 2 shown]
	v_fma_f64 v[191:192], v[78:79], s[16:17], -v[156:157]
	v_fma_f64 v[193:194], v[102:103], s[24:25], v[160:161]
	v_fma_f64 v[195:196], v[78:79], s[22:23], -v[138:139]
	v_fma_f64 v[197:198], v[102:103], s[40:41], v[142:143]
	;; [unrolled: 2-line block ×3, first 2 shown]
	v_add_f64 v[0:1], v[84:85], v[0:1]
	v_add_f64 v[2:3], v[86:87], v[2:3]
	v_add_f64 v[4:5], v[90:91], v[4:5]
	v_add_f64 v[6:7], v[104:105], v[6:7]
	v_add_f64 v[8:9], v[110:111], v[8:9]
	v_add_f64 v[10:11], v[116:117], v[10:11]
	v_add_f64 v[84:85], v[56:57], v[40:41]
	v_add_f64 v[116:117], v[56:57], -v[40:41]
	v_add_f64 v[104:105], v[50:51], -v[46:47]
	v_add_f64 v[86:87], v[50:51], v[46:47]
	v_add_f64 v[90:91], v[48:49], v[44:45]
	v_add_f64 v[110:111], v[48:49], -v[44:45]
	v_add_f64 v[0:1], v[144:145], v[0:1]
	v_add_f64 v[2:3], v[150:151], v[2:3]
	;; [unrolled: 1-line block ×6, first 2 shown]
	v_fma_f64 v[203:204], v[84:85], s[20:21], -v[166:167]
	v_fma_f64 v[205:206], v[116:117], s[26:27], v[170:171]
	v_mul_f64 v[174:175], v[104:105], s[40:41]
	v_mul_f64 v[180:181], v[86:87], s[22:23]
	v_mul_f64 v[162:163], v[104:105], s[30:31]
	v_mul_f64 v[164:165], v[86:87], s[16:17]
	v_mul_f64 v[144:145], v[104:105], s[38:39]
	v_mul_f64 v[150:151], v[86:87], s[6:7]
	v_fma_f64 v[207:208], v[84:85], s[6:7], -v[152:153]
	v_fma_f64 v[209:210], v[116:117], s[4:5], v[154:155]
	v_fma_f64 v[211:212], v[84:85], s[12:13], -v[132:133]
	v_fma_f64 v[213:214], v[116:117], s[34:35], v[140:141]
	v_add_f64 v[0:1], v[191:192], v[0:1]
	v_add_f64 v[2:3], v[193:194], v[2:3]
	;; [unrolled: 1-line block ×6, first 2 shown]
	v_fma_f64 v[191:192], v[90:91], s[22:23], -v[174:175]
	v_fma_f64 v[193:194], v[110:111], s[40:41], v[180:181]
	v_fma_f64 v[195:196], v[90:91], s[16:17], -v[162:163]
	v_fma_f64 v[197:198], v[110:111], s[30:31], v[164:165]
	;; [unrolled: 2-line block ×3, first 2 shown]
	v_add_f64 v[0:1], v[203:204], v[0:1]
	v_add_f64 v[2:3], v[205:206], v[2:3]
	;; [unrolled: 1-line block ×12, first 2 shown]
	v_cmpx_gt_u32_e32 30, v64
	s_cbranch_execz .LBB0_18
; %bb.17:
	v_add_f64 v[26:27], v[18:19], v[26:27]
	v_add_f64 v[24:25], v[16:17], v[24:25]
	v_mul_f64 v[191:192], v[104:105], s[26:27]
	v_add_f64 v[26:27], v[26:27], v[38:39]
	v_add_f64 v[24:25], v[24:25], v[36:37]
	v_mul_f64 v[36:37], v[110:111], s[40:41]
	v_mul_f64 v[38:39], v[168:169], s[18:19]
	v_add_f64 v[26:27], v[26:27], v[54:55]
	v_add_f64 v[24:25], v[24:25], v[52:53]
	v_add_f64 v[36:37], v[180:181], -v[36:37]
	v_fma_f64 v[52:53], v[98:99], s[12:13], v[38:39]
	v_fma_f64 v[38:39], v[98:99], s[12:13], -v[38:39]
	v_add_f64 v[26:27], v[26:27], v[62:63]
	v_add_f64 v[24:25], v[24:25], v[60:61]
	v_mul_f64 v[60:61], v[96:97], s[30:31]
	v_add_f64 v[52:53], v[18:19], v[52:53]
	v_add_f64 v[26:27], v[26:27], v[58:59]
	;; [unrolled: 1-line block ×3, first 2 shown]
	v_mul_f64 v[58:59], v[96:97], s[18:19]
	v_add_f64 v[26:27], v[26:27], v[50:51]
	v_add_f64 v[24:25], v[24:25], v[48:49]
	v_mul_f64 v[48:49], v[168:169], s[30:31]
	v_add_f64 v[26:27], v[26:27], v[46:47]
	v_add_f64 v[24:25], v[24:25], v[44:45]
	v_mul_f64 v[44:45], v[116:117], s[40:41]
	v_mul_f64 v[46:47], v[106:107], s[40:41]
	v_fma_f64 v[54:55], v[98:99], s[16:17], v[48:49]
	v_fma_f64 v[48:49], v[98:99], s[16:17], -v[48:49]
	v_add_f64 v[26:27], v[26:27], v[42:43]
	v_add_f64 v[24:25], v[24:25], v[40:41]
	v_mul_f64 v[40:41], v[94:95], s[40:41]
	v_mul_f64 v[42:43], v[82:83], s[40:41]
	v_add_f64 v[54:55], v[18:19], v[54:55]
	v_add_f64 v[26:27], v[26:27], v[34:35]
	;; [unrolled: 1-line block ×3, first 2 shown]
	v_mul_f64 v[32:33], v[100:101], s[40:41]
	v_mul_f64 v[34:35], v[102:103], s[40:41]
	s_mov_b32 s41, 0xbfddbe06
	v_mul_f64 v[50:51], v[168:169], s[40:41]
	v_mul_f64 v[62:63], v[96:97], s[40:41]
	v_fma_f64 v[96:97], v[158:159], s[12:13], -v[58:59]
	v_fma_f64 v[58:59], v[158:159], s[12:13], v[58:59]
	v_add_f64 v[26:27], v[26:27], v[30:31]
	v_add_f64 v[24:25], v[24:25], v[28:29]
	v_mul_f64 v[28:29], v[158:159], s[20:21]
	v_mul_f64 v[30:31], v[158:159], s[6:7]
	v_add_f64 v[34:35], v[142:143], -v[34:35]
	v_add_f64 v[32:33], v[118:119], -v[32:33]
	v_fma_f64 v[56:57], v[98:99], s[22:23], -v[50:51]
	v_fma_f64 v[50:51], v[98:99], s[22:23], v[50:51]
	v_fma_f64 v[98:99], v[158:159], s[16:17], -v[60:61]
	v_fma_f64 v[60:61], v[158:159], s[16:17], v[60:61]
	v_add_f64 v[96:97], v[16:17], v[96:97]
	v_add_f64 v[58:59], v[16:17], v[58:59]
	v_mul_f64 v[118:119], v[92:93], s[14:15]
	v_add_f64 v[22:23], v[26:27], v[22:23]
	v_add_f64 v[20:21], v[24:25], v[20:21]
	v_mul_f64 v[24:25], v[158:159], s[10:11]
	v_mul_f64 v[26:27], v[168:169], s[4:5]
	v_add_f64 v[28:29], v[28:29], v[176:177]
	v_add_f64 v[30:31], v[30:31], v[172:173]
	;; [unrolled: 1-line block ×4, first 2 shown]
	v_mul_f64 v[176:177], v[102:103], s[38:39]
	v_add_f64 v[60:61], v[16:17], v[60:61]
	v_add_f64 v[14:15], v[22:23], v[14:15]
	;; [unrolled: 1-line block ×3, first 2 shown]
	v_mul_f64 v[20:21], v[168:169], s[14:15]
	v_mul_f64 v[22:23], v[168:169], s[28:29]
	v_add_f64 v[24:25], v[24:25], v[182:183]
	v_add_f64 v[26:27], v[178:179], -v[26:27]
	v_fma_f64 v[168:169], v[158:159], s[22:23], v[62:63]
	v_fma_f64 v[62:63], v[158:159], s[22:23], -v[62:63]
	v_add_f64 v[158:159], v[18:19], v[38:39]
	v_add_f64 v[38:39], v[18:19], v[48:49]
	;; [unrolled: 1-line block ×3, first 2 shown]
	v_mul_f64 v[178:179], v[92:93], s[38:39]
	v_mul_f64 v[182:183], v[116:117], s[14:15]
	;; [unrolled: 1-line block ×3, first 2 shown]
	v_add_f64 v[20:21], v[186:187], -v[20:21]
	v_add_f64 v[22:23], v[184:185], -v[22:23]
	v_mul_f64 v[184:185], v[106:107], s[14:15]
	v_mul_f64 v[186:187], v[110:111], s[26:27]
	v_add_f64 v[168:169], v[16:17], v[168:169]
	v_add_f64 v[62:63], v[16:17], v[62:63]
	v_mul_f64 v[106:107], v[106:107], s[30:31]
	v_add_f64 v[98:99], v[18:19], v[20:21]
	v_add_f64 v[172:173], v[18:19], v[22:23]
	v_add_f64 v[20:21], v[18:19], v[26:27]
	v_add_f64 v[22:23], v[16:17], v[30:31]
	v_add_f64 v[26:27], v[16:17], v[28:29]
	v_add_f64 v[28:29], v[16:17], v[24:25]
	v_fma_f64 v[16:17], v[68:69], s[22:23], v[40:41]
	v_fma_f64 v[18:19], v[72:73], s[22:23], -v[42:43]
	v_mul_f64 v[30:31], v[72:73], s[10:11]
	v_fma_f64 v[40:41], v[68:69], s[22:23], -v[40:41]
	v_fma_f64 v[42:43], v[72:73], s[22:23], v[42:43]
	v_add_f64 v[16:17], v[16:17], v[52:53]
	v_mul_f64 v[52:53], v[100:101], s[30:31]
	v_add_f64 v[18:19], v[18:19], v[96:97]
	v_mul_f64 v[96:97], v[88:89], s[30:31]
	v_add_f64 v[30:31], v[30:31], v[134:135]
	v_mul_f64 v[134:135], v[100:101], s[18:19]
	v_add_f64 v[40:41], v[40:41], v[158:159]
	v_add_f64 v[42:43], v[42:43], v[58:59]
	v_fma_f64 v[58:59], v[90:91], s[20:21], v[191:192]
	v_fma_f64 v[24:25], v[70:71], s[16:17], v[52:53]
	v_fma_f64 v[52:53], v[70:71], s[16:17], -v[52:53]
	v_add_f64 v[22:23], v[30:31], v[22:23]
	v_add_f64 v[134:135], v[148:149], -v[134:135]
	v_mul_f64 v[148:149], v[78:79], s[16:17]
	v_mul_f64 v[30:31], v[84:85], s[20:21]
	v_add_f64 v[16:17], v[24:25], v[16:17]
	v_fma_f64 v[24:25], v[74:75], s[16:17], -v[96:97]
	v_add_f64 v[40:41], v[52:53], v[40:41]
	v_fma_f64 v[52:53], v[74:75], s[16:17], v[96:97]
	v_add_f64 v[148:149], v[148:149], v[156:157]
	v_add_f64 v[30:31], v[30:31], v[166:167]
	v_add_f64 v[18:19], v[24:25], v[18:19]
	v_fma_f64 v[24:25], v[76:77], s[6:7], v[176:177]
	v_add_f64 v[42:43], v[52:53], v[42:43]
	v_fma_f64 v[52:53], v[76:77], s[6:7], -v[176:177]
	v_add_f64 v[16:17], v[24:25], v[16:17]
	v_fma_f64 v[24:25], v[78:79], s[6:7], -v[178:179]
	v_add_f64 v[40:41], v[52:53], v[40:41]
	v_fma_f64 v[52:53], v[78:79], s[6:7], v[178:179]
	v_add_f64 v[18:19], v[24:25], v[18:19]
	v_fma_f64 v[24:25], v[80:81], s[10:11], v[182:183]
	v_add_f64 v[42:43], v[52:53], v[42:43]
	v_fma_f64 v[52:53], v[80:81], s[10:11], -v[182:183]
	v_add_f64 v[16:17], v[24:25], v[16:17]
	v_fma_f64 v[24:25], v[84:85], s[10:11], -v[184:185]
	v_add_f64 v[40:41], v[52:53], v[40:41]
	v_fma_f64 v[52:53], v[84:85], s[10:11], v[184:185]
	v_add_f64 v[24:25], v[24:25], v[18:19]
	v_fma_f64 v[18:19], v[86:87], s[20:21], v[186:187]
	v_add_f64 v[52:53], v[52:53], v[42:43]
	v_fma_f64 v[42:43], v[86:87], s[20:21], -v[186:187]
	v_add_f64 v[18:19], v[18:19], v[16:17]
	v_fma_f64 v[16:17], v[90:91], s[20:21], -v[191:192]
	v_add_f64 v[42:43], v[42:43], v[40:41]
	v_add_f64 v[40:41], v[58:59], v[52:53]
	;; [unrolled: 1-line block ×3, first 2 shown]
	v_mul_f64 v[24:25], v[94:95], s[14:15]
	v_add_f64 v[24:25], v[136:137], -v[24:25]
	v_mul_f64 v[136:137], v[74:75], s[12:13]
	v_add_f64 v[20:21], v[24:25], v[20:21]
	v_add_f64 v[136:137], v[136:137], v[146:147]
	v_mul_f64 v[146:147], v[102:103], s[24:25]
	v_mul_f64 v[24:25], v[116:117], s[26:27]
	v_add_f64 v[20:21], v[134:135], v[20:21]
	v_add_f64 v[22:23], v[136:137], v[22:23]
	v_add_f64 v[146:147], v[160:161], -v[146:147]
	v_add_f64 v[24:25], v[170:171], -v[24:25]
	v_mul_f64 v[134:135], v[90:91], s[22:23]
	v_add_f64 v[22:23], v[148:149], v[22:23]
	v_add_f64 v[20:21], v[146:147], v[20:21]
	;; [unrolled: 1-line block ×5, first 2 shown]
	v_mul_f64 v[30:31], v[72:73], s[12:13]
	v_add_f64 v[22:23], v[36:37], v[20:21]
	v_add_f64 v[20:21], v[134:135], v[24:25]
	v_mul_f64 v[24:25], v[94:95], s[18:19]
	v_add_f64 v[30:31], v[30:31], v[120:121]
	v_mul_f64 v[36:37], v[100:101], s[36:37]
	v_mul_f64 v[120:121], v[74:75], s[10:11]
	v_add_f64 v[24:25], v[124:125], -v[24:25]
	v_mul_f64 v[124:125], v[78:79], s[22:23]
	v_add_f64 v[36:37], v[130:131], -v[36:37]
	v_add_f64 v[120:121], v[120:121], v[128:129]
	v_add_f64 v[26:27], v[30:31], v[26:27]
	v_mul_f64 v[128:129], v[116:117], s[4:5]
	v_mul_f64 v[30:31], v[84:85], s[6:7]
	v_add_f64 v[24:25], v[24:25], v[172:173]
	v_add_f64 v[124:125], v[124:125], v[138:139]
	v_add_f64 v[26:27], v[120:121], v[26:27]
	v_add_f64 v[128:129], v[154:155], -v[128:129]
	v_add_f64 v[30:31], v[30:31], v[152:153]
	v_mul_f64 v[120:121], v[110:111], s[18:19]
	v_add_f64 v[24:25], v[36:37], v[24:25]
	v_mul_f64 v[36:37], v[110:111], s[30:31]
	v_add_f64 v[26:27], v[124:125], v[26:27]
	v_add_f64 v[24:25], v[34:35], v[24:25]
	v_mul_f64 v[34:35], v[90:91], s[16:17]
	v_add_f64 v[36:37], v[164:165], -v[36:37]
	v_add_f64 v[30:31], v[30:31], v[26:27]
	v_add_f64 v[24:25], v[128:129], v[24:25]
	;; [unrolled: 1-line block ×5, first 2 shown]
	v_mul_f64 v[30:31], v[94:95], s[24:25]
	v_mul_f64 v[34:35], v[102:103], s[28:29]
	;; [unrolled: 1-line block ×4, first 2 shown]
	v_add_f64 v[30:31], v[112:113], -v[30:31]
	v_mul_f64 v[112:113], v[72:73], s[16:17]
	v_add_f64 v[34:35], v[126:127], -v[34:35]
	v_add_f64 v[36:37], v[140:141], -v[36:37]
	v_add_f64 v[30:31], v[30:31], v[98:99]
	v_add_f64 v[108:109], v[112:113], v[108:109]
	v_mul_f64 v[112:113], v[74:75], s[22:23]
	v_mul_f64 v[98:99], v[84:85], s[12:13]
	v_add_f64 v[30:31], v[32:33], v[30:31]
	v_add_f64 v[28:29], v[108:109], v[28:29]
	;; [unrolled: 1-line block ×3, first 2 shown]
	v_mul_f64 v[114:115], v[78:79], s[20:21]
	v_add_f64 v[98:99], v[98:99], v[132:133]
	v_mul_f64 v[32:33], v[110:111], s[38:39]
	v_mul_f64 v[108:109], v[100:101], s[28:29]
	;; [unrolled: 1-line block ×3, first 2 shown]
	v_add_f64 v[30:31], v[34:35], v[30:31]
	v_mul_f64 v[34:35], v[90:91], s[6:7]
	v_add_f64 v[28:29], v[112:113], v[28:29]
	v_add_f64 v[114:115], v[114:115], v[122:123]
	v_mul_f64 v[112:113], v[88:89], s[28:29]
	v_add_f64 v[32:33], v[150:151], -v[32:33]
	v_mul_f64 v[122:123], v[104:105], s[18:19]
	v_mul_f64 v[88:89], v[88:89], s[4:5]
	;; [unrolled: 1-line block ×3, first 2 shown]
	v_add_f64 v[30:31], v[36:37], v[30:31]
	v_add_f64 v[34:35], v[34:35], v[144:145]
	v_fma_f64 v[36:37], v[70:71], s[20:21], -v[108:109]
	v_add_f64 v[28:29], v[114:115], v[28:29]
	v_mul_f64 v[114:115], v[102:103], s[14:15]
	v_add_f64 v[30:31], v[32:33], v[30:31]
	v_add_f64 v[28:29], v[98:99], v[28:29]
	v_mul_f64 v[98:99], v[94:95], s[4:5]
	v_mul_f64 v[94:95], v[94:95], s[26:27]
	v_add_f64 v[28:29], v[34:35], v[28:29]
	v_fma_f64 v[32:33], v[68:69], s[6:7], -v[98:99]
	v_fma_f64 v[52:53], v[68:69], s[20:21], v[94:95]
	v_add_f64 v[32:33], v[32:33], v[56:57]
	v_mul_f64 v[56:57], v[82:83], s[4:5]
	v_mul_f64 v[82:83], v[82:83], s[26:27]
	v_add_f64 v[52:53], v[52:53], v[54:55]
	v_add_f64 v[32:33], v[36:37], v[32:33]
	v_fma_f64 v[34:35], v[72:73], s[6:7], v[56:57]
	v_fma_f64 v[36:37], v[74:75], s[20:21], v[112:113]
	v_fma_f64 v[54:55], v[72:73], s[20:21], -v[82:83]
	v_add_f64 v[34:35], v[34:35], v[168:169]
	v_add_f64 v[48:49], v[54:55], v[48:49]
	;; [unrolled: 1-line block ×3, first 2 shown]
	v_fma_f64 v[36:37], v[76:77], s[10:11], -v[114:115]
	v_add_f64 v[32:33], v[36:37], v[32:33]
	v_fma_f64 v[36:37], v[78:79], s[10:11], v[118:119]
	v_add_f64 v[34:35], v[36:37], v[34:35]
	v_fma_f64 v[36:37], v[80:81], s[16:17], -v[116:117]
	v_add_f64 v[32:33], v[36:37], v[32:33]
	v_fma_f64 v[36:37], v[84:85], s[16:17], v[106:107]
	v_add_f64 v[36:37], v[36:37], v[34:35]
	v_fma_f64 v[34:35], v[86:87], s[12:13], -v[120:121]
	v_add_f64 v[34:35], v[34:35], v[32:33]
	v_fma_f64 v[32:33], v[90:91], s[12:13], v[122:123]
	v_add_f64 v[32:33], v[32:33], v[36:37]
	v_fma_f64 v[36:37], v[68:69], s[20:21], -v[94:95]
	v_add_f64 v[36:37], v[36:37], v[38:39]
	v_fma_f64 v[38:39], v[72:73], s[20:21], v[82:83]
	v_add_f64 v[38:39], v[38:39], v[60:61]
	v_mul_f64 v[60:61], v[100:101], s[4:5]
	v_fma_f64 v[100:101], v[70:71], s[6:7], -v[60:61]
	v_fma_f64 v[54:55], v[70:71], s[6:7], v[60:61]
	v_add_f64 v[36:37], v[100:101], v[36:37]
	v_fma_f64 v[100:101], v[74:75], s[6:7], v[88:89]
	v_add_f64 v[52:53], v[54:55], v[52:53]
	v_add_f64 v[38:39], v[100:101], v[38:39]
	v_mul_f64 v[100:101], v[102:103], s[34:35]
	v_fma_f64 v[102:103], v[76:77], s[12:13], -v[100:101]
	v_fma_f64 v[54:55], v[76:77], s[12:13], v[100:101]
	v_add_f64 v[36:37], v[102:103], v[36:37]
	v_fma_f64 v[102:103], v[80:81], s[22:23], -v[44:45]
	v_add_f64 v[52:53], v[54:55], v[52:53]
	v_fma_f64 v[54:55], v[74:75], s[6:7], -v[88:89]
	v_fma_f64 v[44:45], v[80:81], s[22:23], v[44:45]
	v_add_f64 v[36:37], v[102:103], v[36:37]
	v_fma_f64 v[102:103], v[78:79], s[12:13], v[92:93]
	v_add_f64 v[48:49], v[54:55], v[48:49]
	v_add_f64 v[44:45], v[44:45], v[52:53]
	v_fma_f64 v[52:53], v[78:79], s[12:13], -v[92:93]
	v_fma_f64 v[54:55], v[70:71], s[20:21], v[108:109]
	v_add_f64 v[38:39], v[102:103], v[38:39]
	v_fma_f64 v[102:103], v[84:85], s[22:23], v[46:47]
	v_fma_f64 v[46:47], v[84:85], s[22:23], -v[46:47]
	v_add_f64 v[48:49], v[52:53], v[48:49]
	v_fma_f64 v[52:53], v[90:91], s[10:11], -v[104:105]
	v_add_f64 v[102:103], v[102:103], v[38:39]
	;; [unrolled: 2-line block ×3, first 2 shown]
	v_fma_f64 v[46:47], v[86:87], s[10:11], v[110:111]
	v_add_f64 v[38:39], v[38:39], v[36:37]
	v_fma_f64 v[36:37], v[90:91], s[10:11], v[104:105]
	v_add_f64 v[46:47], v[46:47], v[44:45]
	v_add_f64 v[44:45], v[52:53], v[48:49]
	v_fma_f64 v[48:49], v[68:69], s[6:7], v[98:99]
	v_fma_f64 v[52:53], v[72:73], s[6:7], -v[56:57]
	v_fma_f64 v[56:57], v[76:77], s[10:11], v[114:115]
	v_add_f64 v[36:37], v[36:37], v[102:103]
	v_add_f64 v[48:49], v[48:49], v[50:51]
	v_fma_f64 v[50:51], v[74:75], s[20:21], -v[112:113]
	v_add_f64 v[52:53], v[52:53], v[62:63]
	v_add_f64 v[48:49], v[54:55], v[48:49]
	v_fma_f64 v[54:55], v[78:79], s[10:11], -v[118:119]
	v_add_f64 v[50:51], v[50:51], v[52:53]
	v_fma_f64 v[52:53], v[80:81], s[16:17], v[116:117]
	v_add_f64 v[48:49], v[56:57], v[48:49]
	v_fma_f64 v[56:57], v[84:85], s[16:17], -v[106:107]
	v_add_f64 v[50:51], v[54:55], v[50:51]
	v_fma_f64 v[54:55], v[86:87], s[12:13], v[120:121]
	v_add_f64 v[48:49], v[52:53], v[48:49]
	v_fma_f64 v[52:53], v[90:91], s[12:13], -v[122:123]
	v_add_f64 v[56:57], v[56:57], v[50:51]
	v_add_f64 v[50:51], v[54:55], v[48:49]
	;; [unrolled: 1-line block ×3, first 2 shown]
	v_mul_u32_u24_e32 v52, 0xd0, v64
	v_add3_u32 v52, 0, v52, v190
	ds_write_b128 v52, v[12:15]
	ds_write_b128 v52, v[32:35] offset:16
	ds_write_b128 v52, v[20:23] offset:32
	;; [unrolled: 1-line block ×12, first 2 shown]
.LBB0_18:
	s_or_b32 exec_lo, exec_lo, s1
	s_waitcnt lgkmcnt(0)
	s_barrier
	buffer_gl0_inv
	ds_read_b128 v[16:19], v189
	ds_read_b128 v[12:15], v65 offset:624
	ds_read_b128 v[36:39], v65 offset:4160
	;; [unrolled: 1-line block ×8, first 2 shown]
	v_cmp_gt_u32_e64 s0, 13, v64
	s_and_saveexec_b32 s1, s0
	s_cbranch_execz .LBB0_20
; %bb.19:
	ds_read_b128 v[0:3], v65 offset:1872
	ds_read_b128 v[4:7], v65 offset:3952
	;; [unrolled: 1-line block ×3, first 2 shown]
.LBB0_20:
	s_or_b32 exec_lo, exec_lo, s1
	v_add_nc_u16 v49, v64, 39
	v_and_b32_e32 v48, 0xff, v64
	v_add_nc_u16 v50, v64, 0x4e
	s_mov_b32 s4, 0xe8584caa
	s_mov_b32 s5, 0xbfebb67a
	v_and_b32_e32 v51, 0xff, v49
	v_mul_lo_u16 v48, 0x4f, v48
	v_and_b32_e32 v52, 0xff, v50
	s_mov_b32 s7, 0x3febb67a
	s_mov_b32 s6, s4
	v_mul_lo_u16 v51, 0x4f, v51
	v_lshrrev_b16 v63, 10, v48
	v_mul_lo_u16 v52, 0x4f, v52
	v_mov_b32_e32 v48, 5
	v_lshrrev_b16 v90, 10, v51
	v_mul_lo_u16 v51, v63, 13
	v_lshrrev_b16 v91, 10, v52
	v_and_b32_e32 v63, 0xffff, v63
	v_mul_lo_u16 v52, v90, 13
	v_sub_nc_u16 v92, v64, v51
	v_mul_lo_u16 v51, v91, 13
	v_mad_u32_u24 v63, 0x270, v63, 0
	v_sub_nc_u16 v93, v49, v52
	v_lshlrev_b32_sdwa v53, v48, v92 dst_sel:DWORD dst_unused:UNUSED_PAD src0_sel:DWORD src1_sel:BYTE_0
	v_sub_nc_u16 v94, v50, v51
	s_clause 0x1
	global_load_dwordx4 v[49:52], v53, s[8:9]
	global_load_dwordx4 v[53:56], v53, s[8:9] offset:16
	v_lshlrev_b32_sdwa v61, v48, v93 dst_sel:DWORD dst_unused:UNUSED_PAD src0_sel:DWORD src1_sel:BYTE_0
	v_lshlrev_b32_sdwa v62, v48, v94 dst_sel:DWORD dst_unused:UNUSED_PAD src0_sel:DWORD src1_sel:BYTE_0
	s_clause 0x3
	global_load_dwordx4 v[57:60], v61, s[8:9]
	global_load_dwordx4 v[68:71], v61, s[8:9] offset:16
	global_load_dwordx4 v[72:75], v62, s[8:9]
	global_load_dwordx4 v[76:79], v62, s[8:9] offset:16
	s_waitcnt vmcnt(0) lgkmcnt(0)
	s_barrier
	buffer_gl0_inv
	v_mul_f64 v[61:62], v[46:47], v[51:52]
	v_mul_f64 v[80:81], v[38:39], v[55:56]
	;; [unrolled: 1-line block ×12, first 2 shown]
	v_fma_f64 v[44:45], v[44:45], v[49:50], v[61:62]
	v_fma_f64 v[36:37], v[36:37], v[53:54], v[80:81]
	v_fma_f64 v[46:47], v[46:47], v[49:50], -v[51:52]
	v_fma_f64 v[38:39], v[38:39], v[53:54], -v[55:56]
	v_fma_f64 v[40:41], v[40:41], v[57:58], v[82:83]
	v_fma_f64 v[24:25], v[24:25], v[68:69], v[84:85]
	v_fma_f64 v[42:43], v[42:43], v[57:58], -v[59:60]
	v_fma_f64 v[26:27], v[26:27], v[68:69], -v[70:71]
	;; [unrolled: 4-line block ×3, first 2 shown]
	v_and_b32_e32 v82, 0xffff, v90
	v_and_b32_e32 v83, 0xffff, v91
	v_add_f64 v[61:62], v[16:17], v[44:45]
	v_add_f64 v[49:50], v[44:45], v[36:37]
	v_add_f64 v[44:45], v[44:45], -v[36:37]
	v_add_f64 v[51:52], v[46:47], v[38:39]
	v_add_f64 v[68:69], v[46:47], -v[38:39]
	v_add_f64 v[53:54], v[40:41], v[24:25]
	v_add_f64 v[46:47], v[18:19], v[46:47]
	;; [unrolled: 1-line block ×9, first 2 shown]
	v_add_f64 v[42:43], v[42:43], -v[26:27]
	v_add_f64 v[40:41], v[40:41], -v[24:25]
	;; [unrolled: 1-line block ×4, first 2 shown]
	v_fma_f64 v[49:50], v[49:50], -0.5, v[16:17]
	v_fma_f64 v[51:52], v[51:52], -0.5, v[18:19]
	;; [unrolled: 1-line block ×3, first 2 shown]
	v_mov_b32_e32 v12, 4
	v_fma_f64 v[55:56], v[55:56], -0.5, v[14:15]
	v_add_f64 v[13:14], v[61:62], v[36:37]
	v_fma_f64 v[57:58], v[57:58], -0.5, v[20:21]
	v_add_f64 v[15:16], v[46:47], v[38:39]
	;; [unrolled: 2-line block ×3, first 2 shown]
	v_add_f64 v[19:20], v[72:73], v[26:27]
	v_add_f64 v[21:22], v[74:75], v[32:33]
	;; [unrolled: 1-line block ×3, first 2 shown]
	v_mad_u32_u24 v46, 0x270, v82, 0
	v_mad_u32_u24 v47, 0x270, v83, 0
	v_fma_f64 v[25:26], v[68:69], s[4:5], v[49:50]
	v_fma_f64 v[29:30], v[68:69], s[6:7], v[49:50]
	;; [unrolled: 1-line block ×12, first 2 shown]
	v_lshlrev_b32_sdwa v45, v12, v92 dst_sel:DWORD dst_unused:UNUSED_PAD src0_sel:DWORD src1_sel:BYTE_0
	v_lshlrev_b32_sdwa v53, v12, v93 dst_sel:DWORD dst_unused:UNUSED_PAD src0_sel:DWORD src1_sel:BYTE_0
	;; [unrolled: 1-line block ×3, first 2 shown]
	v_add3_u32 v45, v63, v45, v190
	v_add3_u32 v46, v46, v53, v190
	v_add3_u32 v47, v47, v54, v190
	ds_write_b128 v45, v[13:16]
	ds_write_b128 v45, v[25:28] offset:208
	ds_write_b128 v45, v[29:32] offset:416
	ds_write_b128 v46, v[17:20]
	ds_write_b128 v46, v[33:36] offset:208
	ds_write_b128 v46, v[37:40] offset:416
	;; [unrolled: 3-line block ×3, first 2 shown]
	s_and_saveexec_b32 s1, s0
	s_cbranch_execz .LBB0_22
; %bb.21:
	v_add_nc_u16 v13, v64, 0x75
	v_and_b32_e32 v14, 0xff, v13
	v_mul_lo_u16 v14, 0x4f, v14
	v_lshrrev_b16 v14, 10, v14
	v_mul_lo_u16 v14, v14, 13
	v_sub_nc_u16 v25, v13, v14
	v_lshlrev_b32_sdwa v17, v48, v25 dst_sel:DWORD dst_unused:UNUSED_PAD src0_sel:DWORD src1_sel:BYTE_0
	v_lshlrev_b32_sdwa v12, v12, v25 dst_sel:DWORD dst_unused:UNUSED_PAD src0_sel:DWORD src1_sel:BYTE_0
	s_clause 0x1
	global_load_dwordx4 v[13:16], v17, s[8:9]
	global_load_dwordx4 v[17:20], v17, s[8:9] offset:16
	v_add3_u32 v12, 0, v12, v190
	s_waitcnt vmcnt(1)
	v_mul_f64 v[21:22], v[4:5], v[15:16]
	s_waitcnt vmcnt(0)
	v_mul_f64 v[23:24], v[8:9], v[19:20]
	v_mul_f64 v[15:16], v[6:7], v[15:16]
	;; [unrolled: 1-line block ×3, first 2 shown]
	v_fma_f64 v[6:7], v[6:7], v[13:14], -v[21:22]
	v_fma_f64 v[10:11], v[10:11], v[17:18], -v[23:24]
	v_fma_f64 v[4:5], v[4:5], v[13:14], v[15:16]
	v_fma_f64 v[8:9], v[8:9], v[17:18], v[19:20]
	v_add_f64 v[19:20], v[2:3], v[6:7]
	v_add_f64 v[13:14], v[6:7], v[10:11]
	v_add_f64 v[21:22], v[6:7], -v[10:11]
	v_add_f64 v[15:16], v[4:5], v[8:9]
	v_add_f64 v[17:18], v[4:5], -v[8:9]
	v_add_f64 v[4:5], v[0:1], v[4:5]
	v_fma_f64 v[13:14], v[13:14], -0.5, v[2:3]
	v_add_f64 v[2:3], v[19:20], v[10:11]
	v_fma_f64 v[15:16], v[15:16], -0.5, v[0:1]
	v_add_f64 v[0:1], v[4:5], v[8:9]
	v_fma_f64 v[10:11], v[17:18], s[6:7], v[13:14]
	v_fma_f64 v[6:7], v[17:18], s[4:5], v[13:14]
	;; [unrolled: 1-line block ×4, first 2 shown]
	ds_write_b128 v12, v[0:3] offset:5616
	ds_write_b128 v12, v[8:11] offset:5824
	;; [unrolled: 1-line block ×3, first 2 shown]
.LBB0_22:
	s_or_b32 exec_lo, exec_lo, s1
	v_mul_u32_u24_e32 v0, 9, v64
	s_waitcnt lgkmcnt(0)
	s_barrier
	buffer_gl0_inv
	s_mov_b32 s6, 0x134454ff
	v_lshlrev_b32_e32 v32, 4, v0
	s_mov_b32 s7, 0xbfee6f0e
	s_mov_b32 s5, 0x3fee6f0e
	;; [unrolled: 1-line block ×4, first 2 shown]
	s_clause 0x8
	global_load_dwordx4 v[0:3], v32, s[8:9] offset:448
	global_load_dwordx4 v[4:7], v32, s[8:9] offset:480
	;; [unrolled: 1-line block ×9, first 2 shown]
	ds_read_b128 v[36:39], v65 offset:1872
	ds_read_b128 v[40:43], v65 offset:3120
	;; [unrolled: 1-line block ×9, first 2 shown]
	ds_read_b128 v[76:79], v189
	s_mov_b32 s8, 0x4755a5e
	s_mov_b32 s9, 0xbfe2cf23
	;; [unrolled: 1-line block ×11, first 2 shown]
	s_waitcnt vmcnt(0) lgkmcnt(0)
	s_barrier
	buffer_gl0_inv
	v_mul_f64 v[80:81], v[36:37], v[2:3]
	v_mul_f64 v[82:83], v[40:41], v[6:7]
	;; [unrolled: 1-line block ×18, first 2 shown]
	v_fma_f64 v[38:39], v[38:39], v[0:1], -v[80:81]
	v_fma_f64 v[42:43], v[42:43], v[4:5], -v[82:83]
	;; [unrolled: 1-line block ×4, first 2 shown]
	v_fma_f64 v[0:1], v[36:37], v[0:1], v[2:3]
	v_fma_f64 v[4:5], v[40:41], v[4:5], v[6:7]
	v_fma_f64 v[8:9], v[44:45], v[8:9], v[10:11]
	v_fma_f64 v[10:11], v[48:49], v[12:13], v[14:15]
	v_fma_f64 v[12:13], v[54:55], v[16:17], -v[88:89]
	v_fma_f64 v[56:57], v[56:57], v[20:21], v[90:91]
	v_fma_f64 v[20:21], v[58:59], v[20:21], -v[22:23]
	v_fma_f64 v[2:3], v[60:61], v[24:25], v[92:93]
	;; [unrolled: 2-line block ×3, first 2 shown]
	v_fma_f64 v[28:29], v[70:71], v[28:29], -v[30:31]
	v_fma_f64 v[26:27], v[74:75], v[32:33], -v[96:97]
	v_fma_f64 v[6:7], v[72:73], v[32:33], v[34:35]
	v_fma_f64 v[16:17], v[52:53], v[16:17], v[18:19]
	v_add_f64 v[88:89], v[38:39], -v[42:43]
	v_add_f64 v[14:15], v[42:43], v[46:47]
	v_add_f64 v[30:31], v[38:39], v[50:51]
	v_add_f64 v[86:87], v[38:39], -v[50:51]
	v_add_f64 v[90:91], v[50:51], -v[46:47]
	;; [unrolled: 1-line block ×3, first 2 shown]
	v_add_f64 v[48:49], v[4:5], v[8:9]
	v_add_f64 v[52:53], v[0:1], v[10:11]
	v_add_f64 v[54:55], v[0:1], -v[10:11]
	v_add_f64 v[58:59], v[4:5], -v[8:9]
	v_add_f64 v[18:19], v[76:77], v[56:57]
	v_add_f64 v[40:41], v[56:57], -v[2:3]
	v_add_f64 v[92:93], v[42:43], -v[38:39]
	v_add_f64 v[32:33], v[2:3], v[24:25]
	v_add_f64 v[72:73], v[22:23], v[28:29]
	;; [unrolled: 1-line block ×3, first 2 shown]
	v_add_f64 v[44:45], v[6:7], -v[24:25]
	v_add_f64 v[60:61], v[56:57], v[6:7]
	v_add_f64 v[94:95], v[46:47], -v[50:51]
	v_add_f64 v[70:71], v[78:79], v[20:21]
	v_add_f64 v[34:35], v[20:21], -v[26:27]
	v_add_f64 v[36:37], v[22:23], -v[28:29]
	;; [unrolled: 1-line block ×3, first 2 shown]
	v_fma_f64 v[14:15], v[14:15], -0.5, v[12:13]
	v_fma_f64 v[30:31], v[30:31], -0.5, v[12:13]
	v_add_f64 v[12:13], v[12:13], v[38:39]
	v_add_f64 v[68:69], v[24:25], -v[6:7]
	v_add_f64 v[56:57], v[56:57], -v[6:7]
	v_fma_f64 v[48:49], v[48:49], -0.5, v[16:17]
	v_fma_f64 v[52:53], v[52:53], -0.5, v[16:17]
	v_add_f64 v[16:17], v[16:17], v[0:1]
	v_add_f64 v[74:75], v[2:3], -v[24:25]
	v_add_f64 v[104:105], v[0:1], -v[4:5]
	;; [unrolled: 1-line block ×3, first 2 shown]
	v_add_f64 v[2:3], v[18:19], v[2:3]
	v_fma_f64 v[32:33], v[32:33], -0.5, v[76:77]
	v_add_f64 v[0:1], v[4:5], -v[0:1]
	v_add_f64 v[108:109], v[8:9], -v[10:11]
	v_add_f64 v[38:39], v[40:41], v[44:45]
	v_fma_f64 v[18:19], v[60:61], -0.5, v[76:77]
	v_fma_f64 v[40:41], v[72:73], -0.5, v[78:79]
	;; [unrolled: 1-line block ×3, first 2 shown]
	v_add_f64 v[60:61], v[88:89], v[90:91]
	v_add_f64 v[72:73], v[92:93], v[94:95]
	v_add_f64 v[80:81], v[20:21], -v[22:23]
	v_fma_f64 v[100:101], v[54:55], s[4:5], v[14:15]
	v_fma_f64 v[102:103], v[58:59], s[6:7], v[30:31]
	;; [unrolled: 1-line block ×4, first 2 shown]
	v_add_f64 v[20:21], v[22:23], -v[20:21]
	v_fma_f64 v[76:77], v[86:87], s[6:7], v[48:49]
	v_fma_f64 v[78:79], v[96:97], s[4:5], v[52:53]
	;; [unrolled: 1-line block ×4, first 2 shown]
	v_add_f64 v[22:23], v[70:71], v[22:23]
	v_add_f64 v[4:5], v[16:17], v[4:5]
	;; [unrolled: 1-line block ×3, first 2 shown]
	v_add_f64 v[82:83], v[26:27], -v[28:29]
	v_add_f64 v[16:17], v[104:105], v[106:107]
	v_fma_f64 v[42:43], v[34:35], s[6:7], v[32:33]
	v_fma_f64 v[32:33], v[34:35], s[4:5], v[32:33]
	v_add_f64 v[98:99], v[28:29], -v[26:27]
	v_add_f64 v[0:1], v[0:1], v[108:109]
	v_add_f64 v[2:3], v[2:3], v[24:25]
	v_fma_f64 v[84:85], v[58:59], s[10:11], v[100:101]
	v_fma_f64 v[88:89], v[54:55], s[10:11], v[102:103]
	;; [unrolled: 1-line block ×4, first 2 shown]
	v_add_f64 v[54:55], v[62:63], v[68:69]
	v_fma_f64 v[58:59], v[36:37], s[4:5], v[18:19]
	v_fma_f64 v[18:19], v[36:37], s[6:7], v[18:19]
	v_fma_f64 v[62:63], v[56:57], s[4:5], v[40:41]
	v_fma_f64 v[70:71], v[96:97], s[8:9], v[76:77]
	v_fma_f64 v[76:77], v[86:87], s[8:9], v[78:79]
	v_fma_f64 v[40:41], v[56:57], s[6:7], v[40:41]
	v_fma_f64 v[68:69], v[74:75], s[6:7], v[44:45]
	v_fma_f64 v[44:45], v[74:75], s[4:5], v[44:45]
	v_fma_f64 v[48:49], v[96:97], s[10:11], v[48:49]
	v_fma_f64 v[52:53], v[86:87], s[10:11], v[52:53]
	v_add_f64 v[22:23], v[22:23], v[28:29]
	v_add_f64 v[4:5], v[4:5], v[8:9]
	;; [unrolled: 1-line block ×3, first 2 shown]
	v_fma_f64 v[12:13], v[36:37], s[8:9], v[42:43]
	v_fma_f64 v[24:25], v[36:37], s[10:11], v[32:33]
	v_add_f64 v[20:21], v[20:21], v[98:99]
	v_add_f64 v[6:7], v[2:3], v[6:7]
	v_fma_f64 v[78:79], v[60:61], s[0:1], v[84:85]
	v_fma_f64 v[84:85], v[72:73], s[0:1], v[88:89]
	;; [unrolled: 1-line block ×4, first 2 shown]
	v_add_f64 v[60:61], v[80:81], v[82:83]
	v_fma_f64 v[28:29], v[34:35], s[8:9], v[58:59]
	v_fma_f64 v[18:19], v[34:35], s[10:11], v[18:19]
	;; [unrolled: 1-line block ×10, first 2 shown]
	v_add_f64 v[22:23], v[22:23], v[26:27]
	v_add_f64 v[4:5], v[4:5], v[10:11]
	;; [unrolled: 1-line block ×3, first 2 shown]
	v_fma_f64 v[26:27], v[38:39], s[0:1], v[12:13]
	v_fma_f64 v[38:39], v[38:39], s[0:1], v[24:25]
	v_mul_f64 v[46:47], v[78:79], s[8:9]
	v_mul_f64 v[58:59], v[78:79], s[12:13]
	;; [unrolled: 1-line block ×8, first 2 shown]
	v_fma_f64 v[28:29], v[54:55], s[0:1], v[28:29]
	v_fma_f64 v[50:51], v[54:55], s[0:1], v[18:19]
	;; [unrolled: 1-line block ×6, first 2 shown]
	v_add_f64 v[2:3], v[22:23], v[8:9]
	v_fma_f64 v[24:25], v[42:43], s[12:13], v[46:47]
	v_fma_f64 v[42:43], v[42:43], s[10:11], v[58:59]
	;; [unrolled: 1-line block ×8, first 2 shown]
	v_add_f64 v[0:1], v[6:7], v[4:5]
	v_add_f64 v[4:5], v[6:7], -v[4:5]
	v_add_f64 v[6:7], v[22:23], -v[8:9]
	v_add_f64 v[8:9], v[26:27], v[24:25]
	v_add_f64 v[10:11], v[54:55], v[42:43]
	;; [unrolled: 1-line block ×8, first 2 shown]
	v_add_f64 v[24:25], v[26:27], -v[24:25]
	v_add_f64 v[26:27], v[54:55], -v[42:43]
	;; [unrolled: 1-line block ×8, first 2 shown]
	ds_write_b128 v65, v[0:3]
	ds_write_b128 v65, v[4:7] offset:3120
	ds_write_b128 v65, v[8:11] offset:624
	;; [unrolled: 1-line block ×9, first 2 shown]
	s_waitcnt lgkmcnt(0)
	s_barrier
	buffer_gl0_inv
	s_and_saveexec_b32 s0, vcc_lo
	s_cbranch_execz .LBB0_24
; %bb.23:
	v_mov_b32_e32 v65, 0
	v_lshl_add_u32 v30, v64, 4, v188
	v_add_nc_u32_e32 v8, 39, v64
	v_add_co_u32 v31, vcc_lo, s2, v66
	v_mov_b32_e32 v9, v65
	v_lshlrev_b64 v[12:13], 4, v[64:65]
	ds_read_b128 v[0:3], v30
	ds_read_b128 v[4:7], v30 offset:624
	v_add_co_ci_u32_e32 v32, vcc_lo, s3, v67, vcc_lo
	v_lshlrev_b64 v[14:15], 4, v[8:9]
	ds_read_b128 v[8:11], v30 offset:1248
	v_add_nc_u32_e32 v16, 0x4e, v64
	v_mov_b32_e32 v17, v65
	v_add_co_u32 v20, vcc_lo, v31, v12
	v_add_co_ci_u32_e32 v21, vcc_lo, v32, v13, vcc_lo
	v_lshlrev_b64 v[12:13], 4, v[16:17]
	v_add_nc_u32_e32 v16, 0x75, v64
	v_add_co_u32 v22, vcc_lo, v31, v14
	v_add_co_ci_u32_e32 v23, vcc_lo, v32, v15, vcc_lo
	v_lshlrev_b64 v[26:27], 4, v[16:17]
	ds_read_b128 v[16:19], v30 offset:2496
	v_add_co_u32 v24, vcc_lo, v31, v12
	v_add_nc_u32_e32 v28, 0x9c, v64
	v_mov_b32_e32 v29, v65
	v_add_co_ci_u32_e32 v25, vcc_lo, v32, v13, vcc_lo
	ds_read_b128 v[12:15], v30 offset:1872
	s_waitcnt lgkmcnt(4)
	global_store_dwordx4 v[20:21], v[0:3], off
	s_waitcnt lgkmcnt(3)
	global_store_dwordx4 v[22:23], v[4:7], off
	;; [unrolled: 2-line block ×3, first 2 shown]
	v_lshlrev_b64 v[0:1], 4, v[28:29]
	v_add_co_u32 v2, vcc_lo, v31, v26
	v_add_co_ci_u32_e32 v3, vcc_lo, v32, v27, vcc_lo
	v_add_nc_u32_e32 v4, 0xc3, v64
	v_mov_b32_e32 v5, v65
	v_add_co_u32 v6, vcc_lo, v31, v0
	v_add_co_ci_u32_e32 v7, vcc_lo, v32, v1, vcc_lo
	v_add_nc_u32_e32 v8, 0xea, v64
	v_mov_b32_e32 v9, v65
	v_lshlrev_b64 v[4:5], 4, v[4:5]
	s_waitcnt lgkmcnt(1)
	global_store_dwordx4 v[6:7], v[16:19], off
	v_add_nc_u32_e32 v24, 0x138, v64
	v_mov_b32_e32 v25, v65
	v_lshlrev_b64 v[6:7], 4, v[8:9]
	s_waitcnt lgkmcnt(0)
	global_store_dwordx4 v[2:3], v[12:15], off
	v_add_co_u32 v20, vcc_lo, v31, v4
	v_add_nc_u32_e32 v12, 0x111, v64
	v_mov_b32_e32 v13, v65
	v_add_co_ci_u32_e32 v21, vcc_lo, v32, v5, vcc_lo
	v_add_co_u32 v22, vcc_lo, v31, v6
	ds_read_b128 v[0:3], v30 offset:3120
	v_add_co_ci_u32_e32 v23, vcc_lo, v32, v7, vcc_lo
	ds_read_b128 v[4:7], v30 offset:3744
	ds_read_b128 v[8:11], v30 offset:4368
	v_lshlrev_b64 v[26:27], 4, v[12:13]
	ds_read_b128 v[12:15], v30 offset:4992
	ds_read_b128 v[16:19], v30 offset:5616
	v_add_nc_u32_e32 v64, 0x15f, v64
	v_lshlrev_b64 v[24:25], 4, v[24:25]
	v_add_co_u32 v26, vcc_lo, v31, v26
	v_lshlrev_b64 v[28:29], 4, v[64:65]
	v_add_co_ci_u32_e32 v27, vcc_lo, v32, v27, vcc_lo
	v_add_co_u32 v24, vcc_lo, v31, v24
	v_add_co_ci_u32_e32 v25, vcc_lo, v32, v25, vcc_lo
	v_add_co_u32 v28, vcc_lo, v31, v28
	v_add_co_ci_u32_e32 v29, vcc_lo, v32, v29, vcc_lo
	s_waitcnt lgkmcnt(4)
	global_store_dwordx4 v[20:21], v[0:3], off
	s_waitcnt lgkmcnt(3)
	global_store_dwordx4 v[22:23], v[4:7], off
	;; [unrolled: 2-line block ×5, first 2 shown]
.LBB0_24:
	s_endpgm
	.section	.rodata,"a",@progbits
	.p2align	6, 0x0
	.amdhsa_kernel fft_rtc_back_len390_factors_13_3_10_wgs_117_tpt_39_dp_ip_CI_unitstride_sbrr_C2R_dirReg
		.amdhsa_group_segment_fixed_size 0
		.amdhsa_private_segment_fixed_size 0
		.amdhsa_kernarg_size 88
		.amdhsa_user_sgpr_count 6
		.amdhsa_user_sgpr_private_segment_buffer 1
		.amdhsa_user_sgpr_dispatch_ptr 0
		.amdhsa_user_sgpr_queue_ptr 0
		.amdhsa_user_sgpr_kernarg_segment_ptr 1
		.amdhsa_user_sgpr_dispatch_id 0
		.amdhsa_user_sgpr_flat_scratch_init 0
		.amdhsa_user_sgpr_private_segment_size 0
		.amdhsa_wavefront_size32 1
		.amdhsa_uses_dynamic_stack 0
		.amdhsa_system_sgpr_private_segment_wavefront_offset 0
		.amdhsa_system_sgpr_workgroup_id_x 1
		.amdhsa_system_sgpr_workgroup_id_y 0
		.amdhsa_system_sgpr_workgroup_id_z 0
		.amdhsa_system_sgpr_workgroup_info 0
		.amdhsa_system_vgpr_workitem_id 0
		.amdhsa_next_free_vgpr 215
		.amdhsa_next_free_sgpr 42
		.amdhsa_reserve_vcc 1
		.amdhsa_reserve_flat_scratch 0
		.amdhsa_float_round_mode_32 0
		.amdhsa_float_round_mode_16_64 0
		.amdhsa_float_denorm_mode_32 3
		.amdhsa_float_denorm_mode_16_64 3
		.amdhsa_dx10_clamp 1
		.amdhsa_ieee_mode 1
		.amdhsa_fp16_overflow 0
		.amdhsa_workgroup_processor_mode 1
		.amdhsa_memory_ordered 1
		.amdhsa_forward_progress 0
		.amdhsa_shared_vgpr_count 0
		.amdhsa_exception_fp_ieee_invalid_op 0
		.amdhsa_exception_fp_denorm_src 0
		.amdhsa_exception_fp_ieee_div_zero 0
		.amdhsa_exception_fp_ieee_overflow 0
		.amdhsa_exception_fp_ieee_underflow 0
		.amdhsa_exception_fp_ieee_inexact 0
		.amdhsa_exception_int_div_zero 0
	.end_amdhsa_kernel
	.text
.Lfunc_end0:
	.size	fft_rtc_back_len390_factors_13_3_10_wgs_117_tpt_39_dp_ip_CI_unitstride_sbrr_C2R_dirReg, .Lfunc_end0-fft_rtc_back_len390_factors_13_3_10_wgs_117_tpt_39_dp_ip_CI_unitstride_sbrr_C2R_dirReg
                                        ; -- End function
	.section	.AMDGPU.csdata,"",@progbits
; Kernel info:
; codeLenInByte = 10476
; NumSgprs: 44
; NumVgprs: 215
; ScratchSize: 0
; MemoryBound: 0
; FloatMode: 240
; IeeeMode: 1
; LDSByteSize: 0 bytes/workgroup (compile time only)
; SGPRBlocks: 5
; VGPRBlocks: 26
; NumSGPRsForWavesPerEU: 44
; NumVGPRsForWavesPerEU: 215
; Occupancy: 4
; WaveLimiterHint : 1
; COMPUTE_PGM_RSRC2:SCRATCH_EN: 0
; COMPUTE_PGM_RSRC2:USER_SGPR: 6
; COMPUTE_PGM_RSRC2:TRAP_HANDLER: 0
; COMPUTE_PGM_RSRC2:TGID_X_EN: 1
; COMPUTE_PGM_RSRC2:TGID_Y_EN: 0
; COMPUTE_PGM_RSRC2:TGID_Z_EN: 0
; COMPUTE_PGM_RSRC2:TIDIG_COMP_CNT: 0
	.text
	.p2alignl 6, 3214868480
	.fill 48, 4, 3214868480
	.type	__hip_cuid_a8831b9462d43fd8,@object ; @__hip_cuid_a8831b9462d43fd8
	.section	.bss,"aw",@nobits
	.globl	__hip_cuid_a8831b9462d43fd8
__hip_cuid_a8831b9462d43fd8:
	.byte	0                               ; 0x0
	.size	__hip_cuid_a8831b9462d43fd8, 1

	.ident	"AMD clang version 19.0.0git (https://github.com/RadeonOpenCompute/llvm-project roc-6.4.0 25133 c7fe45cf4b819c5991fe208aaa96edf142730f1d)"
	.section	".note.GNU-stack","",@progbits
	.addrsig
	.addrsig_sym __hip_cuid_a8831b9462d43fd8
	.amdgpu_metadata
---
amdhsa.kernels:
  - .args:
      - .actual_access:  read_only
        .address_space:  global
        .offset:         0
        .size:           8
        .value_kind:     global_buffer
      - .offset:         8
        .size:           8
        .value_kind:     by_value
      - .actual_access:  read_only
        .address_space:  global
        .offset:         16
        .size:           8
        .value_kind:     global_buffer
      - .actual_access:  read_only
        .address_space:  global
        .offset:         24
        .size:           8
        .value_kind:     global_buffer
      - .offset:         32
        .size:           8
        .value_kind:     by_value
      - .actual_access:  read_only
        .address_space:  global
        .offset:         40
        .size:           8
        .value_kind:     global_buffer
      - .actual_access:  read_only
        .address_space:  global
        .offset:         48
        .size:           8
        .value_kind:     global_buffer
      - .offset:         56
        .size:           4
        .value_kind:     by_value
      - .actual_access:  read_only
        .address_space:  global
        .offset:         64
        .size:           8
        .value_kind:     global_buffer
      - .actual_access:  read_only
        .address_space:  global
        .offset:         72
        .size:           8
        .value_kind:     global_buffer
      - .address_space:  global
        .offset:         80
        .size:           8
        .value_kind:     global_buffer
    .group_segment_fixed_size: 0
    .kernarg_segment_align: 8
    .kernarg_segment_size: 88
    .language:       OpenCL C
    .language_version:
      - 2
      - 0
    .max_flat_workgroup_size: 117
    .name:           fft_rtc_back_len390_factors_13_3_10_wgs_117_tpt_39_dp_ip_CI_unitstride_sbrr_C2R_dirReg
    .private_segment_fixed_size: 0
    .sgpr_count:     44
    .sgpr_spill_count: 0
    .symbol:         fft_rtc_back_len390_factors_13_3_10_wgs_117_tpt_39_dp_ip_CI_unitstride_sbrr_C2R_dirReg.kd
    .uniform_work_group_size: 1
    .uses_dynamic_stack: false
    .vgpr_count:     215
    .vgpr_spill_count: 0
    .wavefront_size: 32
    .workgroup_processor_mode: 1
amdhsa.target:   amdgcn-amd-amdhsa--gfx1030
amdhsa.version:
  - 1
  - 2
...

	.end_amdgpu_metadata
